;; amdgpu-corpus repo=ROCm/rocFFT kind=compiled arch=gfx1201 opt=O3
	.text
	.amdgcn_target "amdgcn-amd-amdhsa--gfx1201"
	.amdhsa_code_object_version 6
	.protected	bluestein_single_fwd_len1215_dim1_dp_op_CI_CI ; -- Begin function bluestein_single_fwd_len1215_dim1_dp_op_CI_CI
	.globl	bluestein_single_fwd_len1215_dim1_dp_op_CI_CI
	.p2align	8
	.type	bluestein_single_fwd_len1215_dim1_dp_op_CI_CI,@function
bluestein_single_fwd_len1215_dim1_dp_op_CI_CI: ; @bluestein_single_fwd_len1215_dim1_dp_op_CI_CI
; %bb.0:
	s_load_b128 s[16:19], s[0:1], 0x28
	v_mul_u32_u24_e32 v1, 0x10e, v0
	s_mov_b32 s2, exec_lo
	v_mov_b32_e32 v125, 0
	s_delay_alu instid0(VALU_DEP_2) | instskip(NEXT) | instid1(VALU_DEP_1)
	v_lshrrev_b32_e32 v1, 16, v1
	v_add_nc_u32_e32 v124, ttmp9, v1
	s_wait_kmcnt 0x0
	s_delay_alu instid0(VALU_DEP_1)
	v_cmpx_gt_u64_e64 s[16:17], v[124:125]
	s_cbranch_execz .LBB0_42
; %bb.1:
	s_clause 0x1
	s_load_b128 s[4:7], s[0:1], 0x18
	s_load_b128 s[8:11], s[0:1], 0x0
	v_mul_lo_u16 v1, 0xf3, v1
	s_delay_alu instid0(VALU_DEP_1) | instskip(NEXT) | instid1(VALU_DEP_1)
	v_sub_nc_u16 v72, v0, v1
	v_and_b32_e32 v127, 0xffff, v72
	s_delay_alu instid0(VALU_DEP_1)
	v_lshlrev_b32_e32 v128, 4, v127
	s_wait_kmcnt 0x0
	s_load_b128 s[12:15], s[4:5], 0x0
	s_wait_kmcnt 0x0
	v_mad_co_u64_u32 v[0:1], null, s14, v124, 0
	v_mad_co_u64_u32 v[2:3], null, s12, v127, 0
	s_mul_u64 s[2:3], s[12:13], 0xf30
	s_delay_alu instid0(VALU_DEP_1) | instskip(NEXT) | instid1(VALU_DEP_1)
	v_mad_co_u64_u32 v[4:5], null, s15, v124, v[1:2]
	v_mad_co_u64_u32 v[5:6], null, s13, v127, v[3:4]
	v_mov_b32_e32 v1, v4
	s_mov_b32 s13, 0xbfee6f0e
	s_delay_alu instid0(VALU_DEP_1) | instskip(NEXT) | instid1(VALU_DEP_3)
	v_lshlrev_b64_e32 v[0:1], 4, v[0:1]
	v_mov_b32_e32 v3, v5
	s_delay_alu instid0(VALU_DEP_2) | instskip(NEXT) | instid1(VALU_DEP_2)
	v_add_co_u32 v0, vcc_lo, s18, v0
	v_lshlrev_b64_e32 v[2:3], 4, v[2:3]
	s_delay_alu instid0(VALU_DEP_4) | instskip(NEXT) | instid1(VALU_DEP_2)
	v_add_co_ci_u32_e32 v1, vcc_lo, s19, v1, vcc_lo
	v_add_co_u32 v8, vcc_lo, v0, v2
	s_wait_alu 0xfffd
	s_delay_alu instid0(VALU_DEP_2)
	v_add_co_ci_u32_e32 v9, vcc_lo, v1, v3, vcc_lo
	s_clause 0x1
	global_load_b128 v[0:3], v128, s[8:9]
	global_load_b128 v[4:7], v128, s[8:9] offset:3888
	v_add_co_u32 v10, vcc_lo, v8, s2
	s_wait_alu 0xfffd
	v_add_co_ci_u32_e32 v11, vcc_lo, s3, v9, vcc_lo
	s_clause 0x1
	global_load_b128 v[20:23], v[8:9], off
	global_load_b128 v[24:27], v[10:11], off
	v_add_co_u32 v12, vcc_lo, v10, s2
	s_wait_alu 0xfffd
	v_add_co_ci_u32_e32 v13, vcc_lo, s3, v11, vcc_lo
	s_delay_alu instid0(VALU_DEP_2) | instskip(SKIP_1) | instid1(VALU_DEP_2)
	v_add_co_u32 v16, vcc_lo, v12, s2
	s_wait_alu 0xfffd
	v_add_co_ci_u32_e32 v17, vcc_lo, s3, v13, vcc_lo
	global_load_b128 v[28:31], v[12:13], off
	v_add_co_u32 v36, vcc_lo, v16, s2
	s_wait_alu 0xfffd
	v_add_co_ci_u32_e32 v37, vcc_lo, s3, v17, vcc_lo
	s_clause 0x1
	global_load_b128 v[12:15], v128, s[8:9] offset:7776
	global_load_b128 v[8:11], v128, s[8:9] offset:11664
	global_load_b128 v[32:35], v[16:17], off
	global_load_b128 v[16:19], v128, s[8:9] offset:15552
	global_load_b128 v[36:39], v[36:37], off
	s_load_b128 s[4:7], s[6:7], 0x0
	s_mov_b32 s2, 0x134454ff
	s_mov_b32 s3, 0x3fee6f0e
	s_wait_alu 0xfffe
	s_mov_b32 s12, s2
	v_cmp_gt_u16_e32 vcc_lo, 0xa2, v72
	s_wait_loadcnt 0x7
	v_mul_f64_e32 v[40:41], v[22:23], v[2:3]
	v_mul_f64_e32 v[42:43], v[20:21], v[2:3]
	s_wait_loadcnt 0x6
	v_mul_f64_e32 v[44:45], v[26:27], v[6:7]
	v_mul_f64_e32 v[46:47], v[24:25], v[6:7]
	;; [unrolled: 3-line block ×5, first 2 shown]
	v_fma_f64 v[20:21], v[20:21], v[0:1], v[40:41]
	v_fma_f64 v[22:23], v[22:23], v[0:1], -v[42:43]
	v_fma_f64 v[24:25], v[24:25], v[4:5], v[44:45]
	v_fma_f64 v[26:27], v[26:27], v[4:5], -v[46:47]
	;; [unrolled: 2-line block ×5, first 2 shown]
	ds_store_b128 v128, v[20:23]
	ds_store_b128 v128, v[24:27] offset:3888
	ds_store_b128 v128, v[28:31] offset:7776
	;; [unrolled: 1-line block ×4, first 2 shown]
	global_wb scope:SCOPE_SE
	s_wait_dscnt 0x0
	s_wait_kmcnt 0x0
	s_barrier_signal -1
	s_barrier_wait -1
	global_inv scope:SCOPE_SE
	ds_load_b128 v[20:23], v128 offset:7776
	ds_load_b128 v[24:27], v128 offset:11664
	ds_load_b128 v[28:31], v128 offset:3888
	ds_load_b128 v[32:35], v128 offset:15552
	ds_load_b128 v[36:39], v128
	global_wb scope:SCOPE_SE
	s_wait_dscnt 0x0
	s_barrier_signal -1
	s_barrier_wait -1
	global_inv scope:SCOPE_SE
	v_add_f64_e32 v[40:41], v[20:21], v[24:25]
	v_add_f64_e32 v[44:45], v[22:23], v[26:27]
	;; [unrolled: 1-line block ×6, first 2 shown]
	v_add_f64_e64 v[50:51], v[30:31], -v[34:35]
	v_add_f64_e64 v[56:57], v[28:29], -v[32:33]
	;; [unrolled: 1-line block ×9, first 2 shown]
	v_fma_f64 v[40:41], v[40:41], -0.5, v[36:37]
	v_fma_f64 v[44:45], v[44:45], -0.5, v[38:39]
	;; [unrolled: 1-line block ×3, first 2 shown]
	v_add_f64_e64 v[42:43], v[20:21], -v[24:25]
	v_fma_f64 v[38:39], v[46:47], -0.5, v[38:39]
	v_add_f64_e64 v[46:47], v[28:29], -v[20:21]
	v_add_f64_e64 v[28:29], v[20:21], -v[28:29]
	v_add_f64_e32 v[20:21], v[48:49], v[20:21]
	v_add_f64_e32 v[22:23], v[54:55], v[22:23]
	v_fma_f64 v[48:49], v[50:51], s[2:3], v[40:41]
	s_wait_alu 0xfffe
	v_fma_f64 v[40:41], v[50:51], s[12:13], v[40:41]
	v_fma_f64 v[68:69], v[56:57], s[12:13], v[44:45]
	;; [unrolled: 1-line block ×7, first 2 shown]
	s_mov_b32 s2, 0x4755a5e
	s_mov_b32 s3, 0x3fe2cf23
	;; [unrolled: 1-line block ×3, first 2 shown]
	s_wait_alu 0xfffe
	s_mov_b32 s12, s2
	v_add_f64_e32 v[20:21], v[20:21], v[24:25]
	v_add_f64_e32 v[22:23], v[22:23], v[26:27]
	;; [unrolled: 1-line block ×6, first 2 shown]
	v_fma_f64 v[24:25], v[52:53], s[2:3], v[48:49]
	s_wait_alu 0xfffe
	v_fma_f64 v[26:27], v[52:53], s[12:13], v[40:41]
	v_fma_f64 v[40:41], v[42:43], s[12:13], v[68:69]
	;; [unrolled: 1-line block ×7, first 2 shown]
	s_mov_b32 s2, 0x372fe950
	s_mov_b32 s3, 0x3fd3c6ef
                                        ; implicit-def: $vgpr56_vgpr57
	v_add_f64_e32 v[20:21], v[20:21], v[32:33]
	v_add_f64_e32 v[22:23], v[22:23], v[34:35]
	v_mul_lo_u16 v32, v72, 5
	s_delay_alu instid0(VALU_DEP_1) | instskip(NEXT) | instid1(VALU_DEP_1)
	v_and_b32_e32 v32, 0xffff, v32
	v_lshlrev_b32_e32 v131, 4, v32
	s_wait_alu 0xfffe
	v_fma_f64 v[24:25], v[46:47], s[2:3], v[24:25]
	v_fma_f64 v[44:45], v[46:47], s[2:3], v[26:27]
	;; [unrolled: 1-line block ×8, first 2 shown]
	s_load_b64 s[2:3], s[0:1], 0x38
	ds_store_b128 v131, v[20:23]
	ds_store_b128 v131, v[24:27] offset:16
	ds_store_b128 v131, v[28:31] offset:32
	;; [unrolled: 1-line block ×4, first 2 shown]
	global_wb scope:SCOPE_SE
	s_wait_dscnt 0x0
	s_wait_kmcnt 0x0
	s_barrier_signal -1
	s_barrier_wait -1
	global_inv scope:SCOPE_SE
	ds_load_b128 v[40:43], v128
	ds_load_b128 v[48:51], v128 offset:6480
	ds_load_b128 v[52:55], v128 offset:12960
	s_and_saveexec_b32 s0, vcc_lo
	s_cbranch_execz .LBB0_3
; %bb.2:
	ds_load_b128 v[36:39], v128 offset:3888
	ds_load_b128 v[44:47], v128 offset:10368
	;; [unrolled: 1-line block ×3, first 2 shown]
.LBB0_3:
	s_wait_alu 0xfffe
	s_or_b32 exec_lo, exec_lo, s0
	v_add_co_u32 v139, s0, 0xf3, v127
	v_and_b32_e32 v92, 0xff, v127
	s_wait_alu 0xf1ff
	v_add_co_ci_u32_e64 v140, null, 0, 0, s0
	s_delay_alu instid0(VALU_DEP_3)
	v_and_b32_e32 v108, 0xffff, v139
	s_mov_b32 s0, 0xe8584caa
	v_mul_lo_u16 v21, 0xcd, v92
	s_mov_b32 s1, 0x3febb67a
	s_mov_b32 s13, 0xbfebb67a
	v_mul_u32_u24_e32 v20, 0xcccd, v108
	s_wait_alu 0xfffe
	s_mov_b32 s12, s0
	v_lshrrev_b16 v80, 10, v21
	s_delay_alu instid0(VALU_DEP_2) | instskip(NEXT) | instid1(VALU_DEP_2)
	v_lshrrev_b32_e32 v129, 18, v20
	v_mul_lo_u16 v21, v80, 5
	s_delay_alu instid0(VALU_DEP_2) | instskip(NEXT) | instid1(VALU_DEP_1)
	v_mul_lo_u16 v20, v129, 5
	v_sub_nc_u16 v130, v139, v20
	s_delay_alu instid0(VALU_DEP_3) | instskip(NEXT) | instid1(VALU_DEP_2)
	v_sub_nc_u16 v20, v127, v21
	v_lshlrev_b16 v21, 1, v130
	s_delay_alu instid0(VALU_DEP_2) | instskip(NEXT) | instid1(VALU_DEP_2)
	v_and_b32_e32 v81, 0xff, v20
	v_and_b32_e32 v20, 0xffff, v21
	s_delay_alu instid0(VALU_DEP_2) | instskip(NEXT) | instid1(VALU_DEP_2)
	v_lshlrev_b32_e32 v21, 5, v81
	v_lshlrev_b32_e32 v28, 4, v20
	s_clause 0x3
	global_load_b128 v[24:27], v21, s[10:11]
	global_load_b128 v[20:23], v21, s[10:11] offset:16
	global_load_b128 v[32:35], v28, s[10:11]
	global_load_b128 v[28:31], v28, s[10:11] offset:16
	global_wb scope:SCOPE_SE
	s_wait_loadcnt_dscnt 0x0
	s_barrier_signal -1
	s_barrier_wait -1
	global_inv scope:SCOPE_SE
	v_mul_f64_e32 v[60:61], v[50:51], v[26:27]
	v_mul_f64_e32 v[62:63], v[54:55], v[22:23]
	;; [unrolled: 1-line block ×8, first 2 shown]
	v_fma_f64 v[48:49], v[48:49], v[24:25], -v[60:61]
	v_fma_f64 v[52:53], v[52:53], v[20:21], -v[62:63]
	;; [unrolled: 1-line block ×4, first 2 shown]
	v_fma_f64 v[46:47], v[46:47], v[32:33], v[72:73]
	v_fma_f64 v[58:59], v[58:59], v[28:29], v[74:75]
	;; [unrolled: 1-line block ×4, first 2 shown]
	v_add_f64_e32 v[68:69], v[40:41], v[48:49]
	v_add_f64_e32 v[60:61], v[48:49], v[52:53]
	;; [unrolled: 1-line block ×6, first 2 shown]
	v_add_f64_e64 v[76:77], v[46:47], -v[58:59]
	v_add_f64_e32 v[62:63], v[50:51], v[54:55]
	v_add_f64_e64 v[70:71], v[50:51], -v[54:55]
	v_add_f64_e32 v[50:51], v[42:43], v[50:51]
	v_add_f64_e64 v[78:79], v[44:45], -v[56:57]
	v_add_f64_e64 v[48:49], v[48:49], -v[52:53]
	v_fma_f64 v[60:61], v[60:61], -0.5, v[40:41]
	v_fma_f64 v[64:65], v[64:65], -0.5, v[36:37]
	v_add_f64_e32 v[36:37], v[68:69], v[52:53]
	v_fma_f64 v[66:67], v[66:67], -0.5, v[38:39]
	v_add_f64_e32 v[52:53], v[72:73], v[56:57]
	v_fma_f64 v[62:63], v[62:63], -0.5, v[42:43]
	v_add_f64_e32 v[38:39], v[50:51], v[54:55]
	v_add_f64_e32 v[54:55], v[74:75], v[58:59]
	v_fma_f64 v[40:41], v[70:71], s[0:1], v[60:61]
	s_wait_alu 0xfffe
	v_fma_f64 v[44:45], v[70:71], s[12:13], v[60:61]
	v_fma_f64 v[56:57], v[76:77], s[0:1], v[64:65]
	;; [unrolled: 1-line block ×7, first 2 shown]
	v_and_b32_e32 v48, 0xffff, v80
	s_delay_alu instid0(VALU_DEP_1) | instskip(NEXT) | instid1(VALU_DEP_1)
	v_mul_u32_u24_e32 v48, 15, v48
	v_add_lshl_u32 v132, v48, v81, 4
	ds_store_b128 v132, v[36:39]
	ds_store_b128 v132, v[40:43] offset:80
	ds_store_b128 v132, v[44:47] offset:160
	s_and_saveexec_b32 s0, vcc_lo
	s_cbranch_execz .LBB0_5
; %bb.4:
	v_mad_u16 v36, v129, 15, v130
	s_delay_alu instid0(VALU_DEP_1) | instskip(NEXT) | instid1(VALU_DEP_1)
	v_and_b32_e32 v36, 0xffff, v36
	v_lshlrev_b32_e32 v36, 4, v36
	ds_store_b128 v36, v[52:55]
	ds_store_b128 v36, v[56:59] offset:80
	ds_store_b128 v36, v[64:67] offset:160
.LBB0_5:
	s_wait_alu 0xfffe
	s_or_b32 exec_lo, exec_lo, s0
	global_wb scope:SCOPE_SE
	s_wait_dscnt 0x0
	s_barrier_signal -1
	s_barrier_wait -1
	global_inv scope:SCOPE_SE
	ds_load_b128 v[60:63], v128
	ds_load_b128 v[68:71], v128 offset:6480
	ds_load_b128 v[72:75], v128 offset:12960
	s_and_saveexec_b32 s0, vcc_lo
	s_cbranch_execz .LBB0_7
; %bb.6:
	ds_load_b128 v[52:55], v128 offset:3888
	ds_load_b128 v[56:59], v128 offset:10368
	ds_load_b128 v[64:67], v128 offset:16848
.LBB0_7:
	s_wait_alu 0xfffe
	s_or_b32 exec_lo, exec_lo, s0
	v_mul_u32_u24_e32 v36, 0x8889, v108
	v_mul_lo_u16 v37, 0x89, v92
	s_delay_alu instid0(VALU_DEP_2) | instskip(NEXT) | instid1(VALU_DEP_2)
	v_lshrrev_b32_e32 v95, 19, v36
	v_lshrrev_b16 v96, 11, v37
	s_delay_alu instid0(VALU_DEP_2) | instskip(NEXT) | instid1(VALU_DEP_2)
	v_mul_lo_u16 v36, v95, 15
	v_mul_lo_u16 v37, v96, 15
	s_delay_alu instid0(VALU_DEP_2) | instskip(NEXT) | instid1(VALU_DEP_2)
	v_sub_nc_u16 v97, v139, v36
	v_sub_nc_u16 v36, v127, v37
	s_delay_alu instid0(VALU_DEP_2) | instskip(NEXT) | instid1(VALU_DEP_2)
	v_lshlrev_b16 v37, 5, v97
	v_and_b32_e32 v98, 0xff, v36
	v_mad_u16 v134, v95, 45, v97
	s_delay_alu instid0(VALU_DEP_3) | instskip(NEXT) | instid1(VALU_DEP_3)
	v_and_b32_e32 v36, 0xffff, v37
	v_lshlrev_b32_e32 v37, 5, v98
	s_delay_alu instid0(VALU_DEP_2)
	v_add_co_u32 v44, s0, s10, v36
	s_wait_alu 0xf1ff
	v_add_co_ci_u32_e64 v45, null, s11, 0, s0
	s_mov_b32 s0, 0xe8584caa
	s_clause 0x3
	global_load_b128 v[40:43], v37, s[10:11] offset:160
	global_load_b128 v[36:39], v37, s[10:11] offset:176
	global_load_b128 v[48:51], v[44:45], off offset:160
	global_load_b128 v[44:47], v[44:45], off offset:176
	s_mov_b32 s1, 0x3febb67a
	s_wait_alu 0xfffe
	s_mov_b32 s12, s0
	global_wb scope:SCOPE_SE
	s_wait_loadcnt_dscnt 0x0
	s_barrier_signal -1
	s_barrier_wait -1
	global_inv scope:SCOPE_SE
	v_mul_f64_e32 v[76:77], v[70:71], v[42:43]
	v_mul_f64_e32 v[78:79], v[74:75], v[38:39]
	;; [unrolled: 1-line block ×8, first 2 shown]
	v_fma_f64 v[68:69], v[68:69], v[40:41], -v[76:77]
	v_fma_f64 v[72:73], v[72:73], v[36:37], -v[78:79]
	v_fma_f64 v[70:71], v[70:71], v[40:41], v[80:81]
	v_fma_f64 v[74:75], v[74:75], v[36:37], v[82:83]
	v_fma_f64 v[56:57], v[56:57], v[48:49], -v[84:85]
	v_fma_f64 v[64:65], v[64:65], v[44:45], -v[86:87]
	v_fma_f64 v[58:59], v[58:59], v[48:49], v[88:89]
	v_fma_f64 v[66:67], v[66:67], v[44:45], v[90:91]
	v_add_f64_e32 v[84:85], v[60:61], v[68:69]
	v_add_f64_e32 v[76:77], v[68:69], v[72:73]
	;; [unrolled: 1-line block ×3, first 2 shown]
	v_add_f64_e64 v[86:87], v[70:71], -v[74:75]
	v_add_f64_e32 v[80:81], v[56:57], v[64:65]
	v_add_f64_e32 v[70:71], v[62:63], v[70:71]
	;; [unrolled: 1-line block ×5, first 2 shown]
	v_add_f64_e64 v[93:94], v[56:57], -v[64:65]
	v_fma_f64 v[60:61], v[76:77], -0.5, v[60:61]
	v_add_f64_e64 v[76:77], v[68:69], -v[72:73]
	v_fma_f64 v[62:63], v[78:79], -0.5, v[62:63]
	v_add_f64_e64 v[78:79], v[58:59], -v[66:67]
	v_fma_f64 v[80:81], v[80:81], -0.5, v[52:53]
	v_add_f64_e32 v[52:53], v[84:85], v[72:73]
	v_fma_f64 v[82:83], v[82:83], -0.5, v[54:55]
	v_add_f64_e32 v[54:55], v[70:71], v[74:75]
	v_add_f64_e32 v[68:69], v[88:89], v[64:65]
	;; [unrolled: 1-line block ×3, first 2 shown]
	v_and_b32_e32 v64, 0xffff, v96
	s_delay_alu instid0(VALU_DEP_1) | instskip(NEXT) | instid1(VALU_DEP_1)
	v_mul_u32_u24_e32 v64, 45, v64
	v_add_lshl_u32 v133, v64, v98, 4
	v_fma_f64 v[56:57], v[86:87], s[0:1], v[60:61]
	s_wait_alu 0xfffe
	v_fma_f64 v[60:61], v[86:87], s[12:13], v[60:61]
	v_fma_f64 v[58:59], v[76:77], s[12:13], v[62:63]
	;; [unrolled: 1-line block ×7, first 2 shown]
	ds_store_b128 v133, v[52:55]
	ds_store_b128 v133, v[56:59] offset:240
	ds_store_b128 v133, v[60:63] offset:480
	s_and_saveexec_b32 s0, vcc_lo
	s_cbranch_execz .LBB0_9
; %bb.8:
	v_and_b32_e32 v52, 0xffff, v134
	s_delay_alu instid0(VALU_DEP_1)
	v_lshlrev_b32_e32 v52, 4, v52
	ds_store_b128 v52, v[68:71]
	ds_store_b128 v52, v[76:79] offset:240
	ds_store_b128 v52, v[80:83] offset:480
.LBB0_9:
	s_wait_alu 0xfffe
	s_or_b32 exec_lo, exec_lo, s0
	global_wb scope:SCOPE_SE
	s_wait_dscnt 0x0
	s_barrier_signal -1
	s_barrier_wait -1
	global_inv scope:SCOPE_SE
	ds_load_b128 v[72:75], v128
	ds_load_b128 v[84:87], v128 offset:6480
	ds_load_b128 v[88:91], v128 offset:12960
	s_and_saveexec_b32 s0, vcc_lo
	s_cbranch_execz .LBB0_11
; %bb.10:
	ds_load_b128 v[68:71], v128 offset:3888
	ds_load_b128 v[76:79], v128 offset:10368
	;; [unrolled: 1-line block ×3, first 2 shown]
.LBB0_11:
	s_wait_alu 0xfffe
	s_or_b32 exec_lo, exec_lo, s0
	v_mul_lo_u16 v52, 0x6d, v92
	v_mul_u32_u24_e32 v54, 0x2d83, v108
	s_delay_alu instid0(VALU_DEP_2) | instskip(NEXT) | instid1(VALU_DEP_2)
	v_lshrrev_b16 v52, 8, v52
	v_lshrrev_b32_e32 v113, 19, v54
	s_delay_alu instid0(VALU_DEP_2) | instskip(NEXT) | instid1(VALU_DEP_1)
	v_sub_nc_u16 v53, v127, v52
	v_lshrrev_b16 v53, 1, v53
	s_delay_alu instid0(VALU_DEP_1) | instskip(NEXT) | instid1(VALU_DEP_1)
	v_and_b32_e32 v53, 0x7f, v53
	v_add_nc_u16 v52, v53, v52
	v_mul_lo_u16 v53, v113, 45
	s_delay_alu instid0(VALU_DEP_2) | instskip(NEXT) | instid1(VALU_DEP_2)
	v_lshrrev_b16 v114, 5, v52
	v_sub_nc_u16 v115, v139, v53
	s_delay_alu instid0(VALU_DEP_2) | instskip(NEXT) | instid1(VALU_DEP_2)
	v_mul_lo_u16 v52, v114, 45
	v_lshlrev_b16 v53, 5, v115
	v_mad_u16 v135, 0x87, v113, v115
	s_delay_alu instid0(VALU_DEP_3) | instskip(NEXT) | instid1(VALU_DEP_3)
	v_sub_nc_u16 v52, v127, v52
	v_and_b32_e32 v53, 0xffff, v53
	s_delay_alu instid0(VALU_DEP_2) | instskip(NEXT) | instid1(VALU_DEP_2)
	v_and_b32_e32 v116, 0xff, v52
	v_add_co_u32 v52, s0, s10, v53
	s_wait_alu 0xf1ff
	v_add_co_ci_u32_e64 v53, null, s11, 0, s0
	s_delay_alu instid0(VALU_DEP_3)
	v_lshlrev_b32_e32 v60, 5, v116
	s_mov_b32 s0, 0xe8584caa
	s_mov_b32 s1, 0x3febb67a
	s_clause 0x3
	global_load_b128 v[56:59], v[52:53], off offset:640
	global_load_b128 v[52:55], v[52:53], off offset:656
	global_load_b128 v[64:67], v60, s[10:11] offset:640
	global_load_b128 v[60:63], v60, s[10:11] offset:656
	s_wait_alu 0xfffe
	s_mov_b32 s12, s0
	global_wb scope:SCOPE_SE
	s_wait_loadcnt_dscnt 0x0
	s_barrier_signal -1
	s_barrier_wait -1
	global_inv scope:SCOPE_SE
	v_mul_f64_e32 v[92:93], v[78:79], v[58:59]
	v_mul_f64_e32 v[94:95], v[76:77], v[58:59]
	;; [unrolled: 1-line block ×8, first 2 shown]
	v_fma_f64 v[76:77], v[76:77], v[56:57], -v[92:93]
	v_fma_f64 v[78:79], v[78:79], v[56:57], v[94:95]
	v_fma_f64 v[80:81], v[80:81], v[52:53], -v[96:97]
	v_fma_f64 v[82:83], v[82:83], v[52:53], v[98:99]
	v_fma_f64 v[84:85], v[84:85], v[64:65], -v[100:101]
	v_fma_f64 v[88:89], v[88:89], v[60:61], -v[102:103]
	v_fma_f64 v[86:87], v[86:87], v[64:65], v[104:105]
	v_fma_f64 v[90:91], v[90:91], v[60:61], v[106:107]
	v_add_f64_e32 v[100:101], v[68:69], v[76:77]
	v_add_f64_e32 v[92:93], v[76:77], v[80:81]
	;; [unrolled: 1-line block ×3, first 2 shown]
	v_add_f64_e64 v[102:103], v[78:79], -v[82:83]
	v_add_f64_e32 v[96:97], v[84:85], v[88:89]
	v_add_f64_e32 v[78:79], v[70:71], v[78:79]
	;; [unrolled: 1-line block ×3, first 2 shown]
	v_add_f64_e64 v[104:105], v[76:77], -v[80:81]
	v_add_f64_e32 v[76:77], v[72:73], v[84:85]
	v_add_f64_e32 v[106:107], v[74:75], v[86:87]
	v_add_f64_e64 v[109:110], v[86:87], -v[90:91]
	v_add_f64_e64 v[111:112], v[84:85], -v[88:89]
	v_add_f64_e32 v[84:85], v[100:101], v[80:81]
	v_and_b32_e32 v80, 0xffff, v114
	v_fma_f64 v[92:93], v[92:93], -0.5, v[68:69]
	v_fma_f64 v[94:95], v[94:95], -0.5, v[70:71]
	;; [unrolled: 1-line block ×3, first 2 shown]
	v_add_f64_e32 v[86:87], v[78:79], v[82:83]
	v_fma_f64 v[98:99], v[98:99], -0.5, v[74:75]
	v_mul_u32_u24_e32 v80, 0x87, v80
	v_add_f64_e32 v[68:69], v[76:77], v[88:89]
	v_add_f64_e32 v[70:71], v[106:107], v[90:91]
	s_delay_alu instid0(VALU_DEP_3)
	v_add_lshl_u32 v136, v80, v116, 4
	v_fma_f64 v[88:89], v[102:103], s[0:1], v[92:93]
	s_wait_alu 0xfffe
	v_fma_f64 v[92:93], v[102:103], s[12:13], v[92:93]
	v_fma_f64 v[90:91], v[104:105], s[12:13], v[94:95]
	;; [unrolled: 1-line block ×7, first 2 shown]
	ds_store_b128 v136, v[68:71]
	ds_store_b128 v136, v[72:75] offset:720
	ds_store_b128 v136, v[76:79] offset:1440
	s_and_saveexec_b32 s0, vcc_lo
	s_cbranch_execz .LBB0_13
; %bb.12:
	v_and_b32_e32 v68, 0xffff, v135
	s_delay_alu instid0(VALU_DEP_1)
	v_lshlrev_b32_e32 v68, 4, v68
	ds_store_b128 v68, v[84:87]
	ds_store_b128 v68, v[88:91] offset:720
	ds_store_b128 v68, v[92:95] offset:1440
.LBB0_13:
	s_wait_alu 0xfffe
	s_or_b32 exec_lo, exec_lo, s0
	global_wb scope:SCOPE_SE
	s_wait_dscnt 0x0
	s_barrier_signal -1
	s_barrier_wait -1
	global_inv scope:SCOPE_SE
	ds_load_b128 v[96:99], v128
	ds_load_b128 v[100:103], v128 offset:6480
	ds_load_b128 v[104:107], v128 offset:12960
	s_and_saveexec_b32 s0, vcc_lo
	s_cbranch_execz .LBB0_15
; %bb.14:
	ds_load_b128 v[84:87], v128 offset:3888
	ds_load_b128 v[88:91], v128 offset:10368
	;; [unrolled: 1-line block ×3, first 2 shown]
.LBB0_15:
	s_wait_alu 0xfffe
	s_or_b32 exec_lo, exec_lo, s0
	v_mul_u32_u24_e32 v68, 0x795d, v108
	s_delay_alu instid0(VALU_DEP_1) | instskip(SKIP_3) | instid1(VALU_DEP_3)
	v_lshrrev_b32_e32 v123, 22, v68
	v_add_co_u32 v68, s0, 0xffffff79, v127
	s_wait_alu 0xf1ff
	v_add_co_ci_u32_e64 v69, null, 0, -1, s0
	v_mul_lo_u16 v70, 0x87, v123
	v_cmp_gt_u16_e64 s0, 0x87, v127
	s_delay_alu instid0(VALU_DEP_2) | instskip(SKIP_1) | instid1(VALU_DEP_2)
	v_sub_nc_u16 v138, v139, v70
	s_wait_alu 0xf1ff
	v_cndmask_b32_e64 v113, v69, 0, s0
	v_cndmask_b32_e64 v112, v68, v127, s0
	s_delay_alu instid0(VALU_DEP_3) | instskip(SKIP_1) | instid1(VALU_DEP_3)
	v_lshlrev_b16 v70, 5, v138
	v_mad_u16 v138, 0x195, v123, v138
	v_lshlrev_b64_e32 v[68:69], 5, v[112:113]
	s_delay_alu instid0(VALU_DEP_3) | instskip(NEXT) | instid1(VALU_DEP_2)
	v_and_b32_e32 v70, 0xffff, v70
	v_add_co_u32 v68, s0, s10, v68
	s_wait_alu 0xf1ff
	s_delay_alu instid0(VALU_DEP_3) | instskip(NEXT) | instid1(VALU_DEP_3)
	v_add_co_ci_u32_e64 v69, s0, s11, v69, s0
	v_add_co_u32 v76, s0, s10, v70
	s_wait_alu 0xf1ff
	v_add_co_ci_u32_e64 v77, null, s11, 0, s0
	s_clause 0x3
	global_load_b128 v[72:75], v[68:69], off offset:2080
	global_load_b128 v[68:71], v[68:69], off offset:2096
	;; [unrolled: 1-line block ×4, first 2 shown]
	s_mov_b32 s0, 0xe8584caa
	s_mov_b32 s1, 0x3febb67a
	s_wait_alu 0xfffe
	s_mov_b32 s12, s0
	global_wb scope:SCOPE_SE
	s_wait_loadcnt_dscnt 0x0
	s_barrier_signal -1
	s_barrier_wait -1
	global_inv scope:SCOPE_SE
	v_mul_f64_e32 v[108:109], v[102:103], v[74:75]
	v_mul_f64_e32 v[110:111], v[106:107], v[70:71]
	;; [unrolled: 1-line block ×8, first 2 shown]
	v_fma_f64 v[100:101], v[100:101], v[72:73], -v[108:109]
	v_fma_f64 v[104:105], v[104:105], v[68:69], -v[110:111]
	v_fma_f64 v[102:103], v[102:103], v[72:73], v[113:114]
	v_fma_f64 v[106:107], v[106:107], v[68:69], v[115:116]
	v_fma_f64 v[88:89], v[88:89], v[80:81], -v[117:118]
	v_fma_f64 v[92:93], v[92:93], v[76:77], -v[119:120]
	v_fma_f64 v[90:91], v[90:91], v[80:81], v[121:122]
	v_fma_f64 v[94:95], v[94:95], v[76:77], v[125:126]
	v_add_f64_e32 v[117:118], v[96:97], v[100:101]
	v_add_f64_e32 v[108:109], v[100:101], v[104:105]
	v_add_f64_e64 v[100:101], v[100:101], -v[104:105]
	v_add_f64_e32 v[110:111], v[102:103], v[106:107]
	v_add_f64_e64 v[119:120], v[102:103], -v[106:107]
	v_add_f64_e32 v[113:114], v[88:89], v[92:93]
	v_add_f64_e32 v[102:103], v[98:99], v[102:103]
	;; [unrolled: 1-line block ×5, first 2 shown]
	v_fma_f64 v[96:97], v[108:109], -0.5, v[96:97]
	v_add_f64_e64 v[108:109], v[90:91], -v[94:95]
	v_fma_f64 v[98:99], v[110:111], -0.5, v[98:99]
	v_fma_f64 v[110:111], v[113:114], -0.5, v[84:85]
	v_add_f64_e64 v[113:114], v[88:89], -v[92:93]
	v_fma_f64 v[115:116], v[115:116], -0.5, v[86:87]
	v_add_f64_e32 v[84:85], v[117:118], v[104:105]
	v_add_f64_e32 v[86:87], v[102:103], v[106:107]
	;; [unrolled: 1-line block ×4, first 2 shown]
	v_fma_f64 v[88:89], v[119:120], s[0:1], v[96:97]
	s_wait_alu 0xfffe
	v_fma_f64 v[92:93], v[119:120], s[12:13], v[96:97]
	v_fma_f64 v[90:91], v[100:101], s[12:13], v[98:99]
	;; [unrolled: 1-line block ×7, first 2 shown]
	v_cmp_lt_u16_e64 s0, 0x86, v127
	s_wait_alu 0xf1ff
	s_delay_alu instid0(VALU_DEP_1) | instskip(NEXT) | instid1(VALU_DEP_1)
	v_cndmask_b32_e64 v96, 0, 0x195, s0
	v_add_lshl_u32 v137, v112, v96, 4
	ds_store_b128 v137, v[84:87]
	ds_store_b128 v137, v[88:91] offset:2160
	ds_store_b128 v137, v[92:95] offset:4320
	s_and_saveexec_b32 s0, vcc_lo
	s_cbranch_execz .LBB0_17
; %bb.16:
	v_and_b32_e32 v84, 0xffff, v138
	s_delay_alu instid0(VALU_DEP_1)
	v_lshlrev_b32_e32 v84, 4, v84
	ds_store_b128 v84, v[104:107]
	ds_store_b128 v84, v[100:103] offset:2160
	ds_store_b128 v84, v[108:111] offset:4320
.LBB0_17:
	s_wait_alu 0xfffe
	s_or_b32 exec_lo, exec_lo, s0
	global_wb scope:SCOPE_SE
	s_wait_dscnt 0x0
	s_barrier_signal -1
	s_barrier_wait -1
	global_inv scope:SCOPE_SE
	ds_load_b128 v[112:115], v128
	ds_load_b128 v[120:123], v128 offset:6480
	ds_load_b128 v[116:119], v128 offset:12960
	v_add_co_u32 v125, s0, s8, v128
	s_wait_alu 0xf1ff
	v_add_co_ci_u32_e64 v126, null, s9, 0, s0
	s_and_saveexec_b32 s0, vcc_lo
	s_cbranch_execz .LBB0_19
; %bb.18:
	ds_load_b128 v[104:107], v128 offset:3888
	ds_load_b128 v[100:103], v128 offset:10368
	;; [unrolled: 1-line block ×3, first 2 shown]
.LBB0_19:
	s_wait_alu 0xfffe
	s_or_b32 exec_lo, exec_lo, s0
	v_add_co_u32 v84, s0, 0xffffff5e, v127
	s_wait_alu 0xf1ff
	v_add_co_ci_u32_e64 v85, null, 0, -1, s0
	v_lshlrev_b32_e32 v86, 5, v127
	s_delay_alu instid0(VALU_DEP_2) | instskip(NEXT) | instid1(VALU_DEP_1)
	v_dual_cndmask_b32 v84, v84, v139 :: v_dual_cndmask_b32 v85, v85, v140
	v_lshlrev_b64_e32 v[84:85], 5, v[84:85]
	s_delay_alu instid0(VALU_DEP_1) | instskip(SKIP_1) | instid1(VALU_DEP_2)
	v_add_co_u32 v84, s0, s10, v84
	s_wait_alu 0xf1ff
	v_add_co_ci_u32_e64 v85, s0, s11, v85, s0
	s_mov_b32 s0, 0xe8584caa
	s_clause 0x3
	global_load_b128 v[96:99], v86, s[10:11] offset:6400
	global_load_b128 v[92:95], v86, s[10:11] offset:6416
	global_load_b128 v[88:91], v[84:85], off offset:6400
	global_load_b128 v[84:87], v[84:85], off offset:6416
	s_mov_b32 s1, 0x3febb67a
	s_mov_b32 s11, 0xbfebb67a
	s_wait_alu 0xfffe
	s_mov_b32 s10, s0
	s_wait_loadcnt_dscnt 0x301
	v_mul_f64_e32 v[139:140], v[122:123], v[98:99]
	v_mul_f64_e32 v[141:142], v[120:121], v[98:99]
	s_wait_loadcnt_dscnt 0x200
	v_mul_f64_e32 v[143:144], v[118:119], v[94:95]
	v_mul_f64_e32 v[145:146], v[116:117], v[94:95]
	s_wait_loadcnt 0x1
	v_mul_f64_e32 v[147:148], v[102:103], v[90:91]
	v_mul_f64_e32 v[149:150], v[100:101], v[90:91]
	s_wait_loadcnt 0x0
	v_mul_f64_e32 v[151:152], v[110:111], v[86:87]
	v_mul_f64_e32 v[153:154], v[108:109], v[86:87]
	v_fma_f64 v[120:121], v[120:121], v[96:97], -v[139:140]
	v_fma_f64 v[122:123], v[122:123], v[96:97], v[141:142]
	v_fma_f64 v[139:140], v[116:117], v[92:93], -v[143:144]
	v_fma_f64 v[141:142], v[118:119], v[92:93], v[145:146]
	;; [unrolled: 2-line block ×4, first 2 shown]
	v_add_f64_e32 v[147:148], v[112:113], v[120:121]
	v_add_f64_e32 v[151:152], v[114:115], v[122:123]
	;; [unrolled: 1-line block ×4, first 2 shown]
	v_add_f64_e64 v[149:150], v[122:123], -v[141:142]
	v_add_f64_e64 v[153:154], v[120:121], -v[139:140]
	v_add_f64_e32 v[143:144], v[116:117], v[108:109]
	v_add_f64_e32 v[145:146], v[118:119], v[110:111]
	v_add_f64_e64 v[120:121], v[118:119], -v[110:111]
	v_add_f64_e64 v[122:123], v[116:117], -v[108:109]
	v_add_f64_e32 v[139:140], v[147:148], v[139:140]
	v_add_f64_e32 v[141:142], v[151:152], v[141:142]
	v_fma_f64 v[100:101], v[100:101], -0.5, v[112:113]
	v_fma_f64 v[102:103], v[102:103], -0.5, v[114:115]
	;; [unrolled: 1-line block ×4, first 2 shown]
	s_delay_alu instid0(VALU_DEP_4)
	v_fma_f64 v[143:144], v[149:150], s[0:1], v[100:101]
	s_wait_alu 0xfffe
	v_fma_f64 v[147:148], v[149:150], s[10:11], v[100:101]
	v_fma_f64 v[145:146], v[153:154], s[10:11], v[102:103]
	;; [unrolled: 1-line block ×5, first 2 shown]
	ds_store_b128 v128, v[139:142]
	ds_store_b128 v128, v[143:146] offset:6480
	ds_store_b128 v128, v[147:150] offset:12960
	s_and_saveexec_b32 s10, vcc_lo
	s_cbranch_execz .LBB0_21
; %bb.20:
	v_add_f64_e32 v[118:119], v[106:107], v[118:119]
	v_add_f64_e32 v[104:105], v[104:105], v[116:117]
	v_mul_f64_e32 v[122:123], s[0:1], v[122:123]
	v_mul_f64_e32 v[116:117], s[0:1], v[120:121]
	s_delay_alu instid0(VALU_DEP_4) | instskip(NEXT) | instid1(VALU_DEP_4)
	v_add_f64_e32 v[110:111], v[118:119], v[110:111]
	v_add_f64_e32 v[108:109], v[104:105], v[108:109]
	s_delay_alu instid0(VALU_DEP_4) | instskip(NEXT) | instid1(VALU_DEP_4)
	v_add_f64_e64 v[106:107], v[114:115], -v[122:123]
	v_add_f64_e32 v[104:105], v[116:117], v[112:113]
	ds_store_b128 v128, v[108:111] offset:3888
	ds_store_b128 v128, v[104:107] offset:10368
	;; [unrolled: 1-line block ×3, first 2 shown]
.LBB0_21:
	s_wait_alu 0xfffe
	s_or_b32 exec_lo, exec_lo, s10
	s_add_nc_u64 s[0:1], s[8:9], 0x4bf0
	global_wb scope:SCOPE_SE
	s_wait_dscnt 0x0
	s_barrier_signal -1
	s_barrier_wait -1
	global_inv scope:SCOPE_SE
	s_clause 0x4
	global_load_b128 v[104:107], v[125:126], off offset:19440
	global_load_b128 v[108:111], v128, s[0:1] offset:3888
	global_load_b128 v[112:115], v128, s[0:1] offset:7776
	;; [unrolled: 1-line block ×4, first 2 shown]
	ds_load_b128 v[139:142], v128
	ds_load_b128 v[143:146], v128 offset:3888
	ds_load_b128 v[147:150], v128 offset:7776
	ds_load_b128 v[151:154], v128 offset:11664
	ds_load_b128 v[155:158], v128 offset:15552
	s_mov_b32 s0, 0x134454ff
	s_mov_b32 s1, 0xbfee6f0e
	;; [unrolled: 1-line block ×3, first 2 shown]
	s_wait_alu 0xfffe
	s_mov_b32 s8, s0
	s_wait_loadcnt_dscnt 0x404
	v_mul_f64_e32 v[125:126], v[141:142], v[106:107]
	v_mul_f64_e32 v[106:107], v[139:140], v[106:107]
	s_wait_loadcnt_dscnt 0x303
	v_mul_f64_e32 v[159:160], v[145:146], v[110:111]
	v_mul_f64_e32 v[110:111], v[143:144], v[110:111]
	;; [unrolled: 3-line block ×5, first 2 shown]
	v_fma_f64 v[139:140], v[139:140], v[104:105], -v[125:126]
	v_fma_f64 v[141:142], v[141:142], v[104:105], v[106:107]
	v_fma_f64 v[104:105], v[143:144], v[108:109], -v[159:160]
	v_fma_f64 v[106:107], v[145:146], v[108:109], v[110:111]
	;; [unrolled: 2-line block ×5, first 2 shown]
	ds_store_b128 v128, v[139:142]
	ds_store_b128 v128, v[104:107] offset:3888
	ds_store_b128 v128, v[108:111] offset:7776
	;; [unrolled: 1-line block ×4, first 2 shown]
	global_wb scope:SCOPE_SE
	s_wait_dscnt 0x0
	s_barrier_signal -1
	s_barrier_wait -1
	global_inv scope:SCOPE_SE
	ds_load_b128 v[104:107], v128 offset:7776
	ds_load_b128 v[108:111], v128 offset:11664
	;; [unrolled: 1-line block ×4, first 2 shown]
	ds_load_b128 v[120:123], v128
	global_wb scope:SCOPE_SE
	s_wait_dscnt 0x0
	s_barrier_signal -1
	s_barrier_wait -1
	global_inv scope:SCOPE_SE
	v_add_f64_e32 v[125:126], v[104:105], v[108:109]
	v_add_f64_e32 v[141:142], v[106:107], v[110:111]
	;; [unrolled: 1-line block ×6, first 2 shown]
	v_add_f64_e64 v[147:148], v[114:115], -v[118:119]
	v_add_f64_e64 v[153:154], v[112:113], -v[116:117]
	;; [unrolled: 1-line block ×9, first 2 shown]
	v_fma_f64 v[125:126], v[125:126], -0.5, v[120:121]
	v_fma_f64 v[141:142], v[141:142], -0.5, v[122:123]
	v_fma_f64 v[120:121], v[139:140], -0.5, v[120:121]
	v_add_f64_e64 v[139:140], v[104:105], -v[108:109]
	v_fma_f64 v[122:123], v[143:144], -0.5, v[122:123]
	v_add_f64_e64 v[143:144], v[112:113], -v[104:105]
	v_add_f64_e64 v[112:113], v[104:105], -v[112:113]
	v_add_f64_e32 v[104:105], v[145:146], v[104:105]
	v_add_f64_e32 v[106:107], v[151:152], v[106:107]
	;; [unrolled: 1-line block ×3, first 2 shown]
	v_fma_f64 v[145:146], v[147:148], s[0:1], v[125:126]
	s_wait_alu 0xfffe
	v_fma_f64 v[125:126], v[147:148], s[8:9], v[125:126]
	v_fma_f64 v[165:166], v[153:154], s[8:9], v[141:142]
	;; [unrolled: 1-line block ×7, first 2 shown]
	s_mov_b32 s0, 0x4755a5e
	s_mov_b32 s1, 0xbfe2cf23
	;; [unrolled: 1-line block ×3, first 2 shown]
	s_wait_alu 0xfffe
	s_mov_b32 s8, s0
	v_add_f64_e32 v[104:105], v[104:105], v[108:109]
	v_add_f64_e32 v[106:107], v[106:107], v[110:111]
	;; [unrolled: 1-line block ×5, first 2 shown]
	v_fma_f64 v[112:113], v[149:150], s[0:1], v[145:146]
	s_wait_alu 0xfffe
	v_fma_f64 v[125:126], v[149:150], s[8:9], v[125:126]
	v_fma_f64 v[149:150], v[139:140], s[8:9], v[165:166]
	;; [unrolled: 1-line block ×7, first 2 shown]
	s_mov_b32 s0, 0x372fe950
	s_mov_b32 s1, 0x3fd3c6ef
	v_add_f64_e32 v[108:109], v[104:105], v[116:117]
	v_add_f64_e32 v[110:111], v[106:107], v[118:119]
	s_wait_alu 0xfffe
	v_fma_f64 v[116:117], v[143:144], s[0:1], v[112:113]
	v_fma_f64 v[112:113], v[143:144], s[0:1], v[125:126]
	;; [unrolled: 1-line block ×8, first 2 shown]
	ds_store_b128 v131, v[108:111]
	ds_store_b128 v131, v[116:119] offset:16
	ds_store_b128 v131, v[120:123] offset:32
	;; [unrolled: 1-line block ×4, first 2 shown]
	global_wb scope:SCOPE_SE
	s_wait_dscnt 0x0
	s_barrier_signal -1
	s_barrier_wait -1
	global_inv scope:SCOPE_SE
	ds_load_b128 v[108:111], v128
	ds_load_b128 v[116:119], v128 offset:6480
	ds_load_b128 v[120:123], v128 offset:12960
	s_and_saveexec_b32 s0, vcc_lo
	s_cbranch_execz .LBB0_23
; %bb.22:
	ds_load_b128 v[104:107], v128 offset:3888
	ds_load_b128 v[112:115], v128 offset:10368
	ds_load_b128 v[100:103], v128 offset:16848
.LBB0_23:
	s_wait_alu 0xfffe
	s_or_b32 exec_lo, exec_lo, s0
	s_wait_dscnt 0x1
	v_mul_f64_e32 v[125:126], v[26:27], v[118:119]
	s_wait_dscnt 0x0
	v_mul_f64_e32 v[139:140], v[22:23], v[122:123]
	v_mul_f64_e32 v[26:27], v[26:27], v[116:117]
	;; [unrolled: 1-line block ×7, first 2 shown]
	s_mov_b32 s0, 0xe8584caa
	s_mov_b32 s1, 0xbfebb67a
	;; [unrolled: 1-line block ×3, first 2 shown]
	s_wait_alu 0xfffe
	s_mov_b32 s8, s0
	global_wb scope:SCOPE_SE
	s_barrier_signal -1
	s_barrier_wait -1
	global_inv scope:SCOPE_SE
	v_fma_f64 v[116:117], v[24:25], v[116:117], v[125:126]
	v_fma_f64 v[120:121], v[20:21], v[120:121], v[139:140]
	v_fma_f64 v[24:25], v[24:25], v[118:119], -v[26:27]
	v_fma_f64 v[20:21], v[20:21], v[122:123], -v[22:23]
	v_fma_f64 v[22:23], v[32:33], v[112:113], v[141:142]
	v_fma_f64 v[100:101], v[28:29], v[100:101], v[143:144]
	v_fma_f64 v[26:27], v[32:33], v[114:115], -v[34:35]
	v_fma_f64 v[28:29], v[28:29], v[102:103], -v[30:31]
	v_add_f64_e32 v[112:113], v[108:109], v[116:117]
	v_add_f64_e32 v[30:31], v[116:117], v[120:121]
	;; [unrolled: 1-line block ×4, first 2 shown]
	v_add_f64_e64 v[114:115], v[24:25], -v[20:21]
	v_add_f64_e32 v[34:35], v[22:23], v[100:101]
	v_add_f64_e32 v[122:123], v[104:105], v[22:23]
	;; [unrolled: 1-line block ×5, first 2 shown]
	v_fma_f64 v[30:31], v[30:31], -0.5, v[108:109]
	v_add_f64_e64 v[108:109], v[116:117], -v[120:121]
	v_fma_f64 v[32:33], v[32:33], -0.5, v[110:111]
	v_add_f64_e64 v[110:111], v[26:27], -v[28:29]
	;; [unrolled: 2-line block ×3, first 2 shown]
	v_fma_f64 v[139:140], v[102:103], -0.5, v[106:107]
	v_add_f64_e32 v[26:27], v[118:119], v[20:21]
	v_add_f64_e32 v[20:21], v[122:123], v[100:101]
	;; [unrolled: 1-line block ×3, first 2 shown]
	v_fma_f64 v[100:101], v[114:115], s[0:1], v[30:31]
	s_wait_alu 0xfffe
	v_fma_f64 v[104:105], v[114:115], s[8:9], v[30:31]
	v_fma_f64 v[102:103], v[108:109], s[8:9], v[32:33]
	;; [unrolled: 1-line block ×7, first 2 shown]
	ds_store_b128 v132, v[24:27]
	ds_store_b128 v132, v[100:103] offset:80
	ds_store_b128 v132, v[104:107] offset:160
	s_and_saveexec_b32 s0, vcc_lo
	s_cbranch_execz .LBB0_25
; %bb.24:
	v_mad_u16 v24, v129, 15, v130
	s_delay_alu instid0(VALU_DEP_1) | instskip(NEXT) | instid1(VALU_DEP_1)
	v_and_b32_e32 v24, 0xffff, v24
	v_lshlrev_b32_e32 v24, 4, v24
	ds_store_b128 v24, v[20:23]
	ds_store_b128 v24, v[28:31] offset:80
	ds_store_b128 v24, v[32:35] offset:160
.LBB0_25:
	s_wait_alu 0xfffe
	s_or_b32 exec_lo, exec_lo, s0
	global_wb scope:SCOPE_SE
	s_wait_dscnt 0x0
	s_barrier_signal -1
	s_barrier_wait -1
	global_inv scope:SCOPE_SE
	ds_load_b128 v[24:27], v128
	ds_load_b128 v[100:103], v128 offset:6480
	ds_load_b128 v[104:107], v128 offset:12960
	s_and_saveexec_b32 s0, vcc_lo
	s_cbranch_execz .LBB0_27
; %bb.26:
	ds_load_b128 v[20:23], v128 offset:3888
	ds_load_b128 v[28:31], v128 offset:10368
	;; [unrolled: 1-line block ×3, first 2 shown]
.LBB0_27:
	s_wait_alu 0xfffe
	s_or_b32 exec_lo, exec_lo, s0
	s_wait_dscnt 0x1
	v_mul_f64_e32 v[112:113], v[50:51], v[30:31]
	s_wait_dscnt 0x0
	v_mul_f64_e32 v[114:115], v[46:47], v[34:35]
	v_mul_f64_e32 v[50:51], v[50:51], v[28:29]
	;; [unrolled: 1-line block ×7, first 2 shown]
	s_mov_b32 s0, 0xe8584caa
	s_mov_b32 s1, 0xbfebb67a
	s_wait_alu 0xfffe
	s_mov_b32 s8, s0
	global_wb scope:SCOPE_SE
	s_barrier_signal -1
	s_barrier_wait -1
	global_inv scope:SCOPE_SE
	v_fma_f64 v[28:29], v[48:49], v[28:29], v[112:113]
	v_fma_f64 v[32:33], v[44:45], v[32:33], v[114:115]
	v_fma_f64 v[30:31], v[48:49], v[30:31], -v[50:51]
	v_fma_f64 v[34:35], v[44:45], v[34:35], -v[46:47]
	v_fma_f64 v[100:101], v[40:41], v[100:101], v[108:109]
	v_fma_f64 v[104:105], v[36:37], v[104:105], v[110:111]
	v_fma_f64 v[40:41], v[40:41], v[102:103], -v[42:43]
	v_fma_f64 v[36:37], v[36:37], v[106:107], -v[38:39]
	v_add_f64_e32 v[102:103], v[20:21], v[28:29]
	v_add_f64_e32 v[44:45], v[28:29], v[32:33]
	;; [unrolled: 1-line block ×6, first 2 shown]
	v_add_f64_e64 v[30:31], v[30:31], -v[34:35]
	v_add_f64_e32 v[42:43], v[40:41], v[36:37]
	v_add_f64_e64 v[50:51], v[40:41], -v[36:37]
	v_add_f64_e32 v[40:41], v[26:27], v[40:41]
	v_add_f64_e64 v[108:109], v[28:29], -v[32:33]
	v_add_f64_e64 v[100:101], v[100:101], -v[104:105]
	v_fma_f64 v[44:45], v[44:45], -0.5, v[20:21]
	v_add_f64_e32 v[20:21], v[102:103], v[32:33]
	v_fma_f64 v[46:47], v[46:47], -0.5, v[22:23]
	v_add_f64_e32 v[22:23], v[106:107], v[34:35]
	;; [unrolled: 2-line block ×4, first 2 shown]
	v_fma_f64 v[28:29], v[30:31], s[0:1], v[44:45]
	s_wait_alu 0xfffe
	v_fma_f64 v[32:33], v[30:31], s[8:9], v[44:45]
	v_fma_f64 v[30:31], v[108:109], s[8:9], v[46:47]
	;; [unrolled: 1-line block ×7, first 2 shown]
	ds_store_b128 v133, v[24:27]
	ds_store_b128 v133, v[36:39] offset:240
	ds_store_b128 v133, v[40:43] offset:480
	s_and_saveexec_b32 s0, vcc_lo
	s_cbranch_execz .LBB0_29
; %bb.28:
	v_and_b32_e32 v24, 0xffff, v134
	s_delay_alu instid0(VALU_DEP_1)
	v_lshlrev_b32_e32 v24, 4, v24
	ds_store_b128 v24, v[20:23]
	ds_store_b128 v24, v[28:31] offset:240
	ds_store_b128 v24, v[32:35] offset:480
.LBB0_29:
	s_wait_alu 0xfffe
	s_or_b32 exec_lo, exec_lo, s0
	global_wb scope:SCOPE_SE
	s_wait_dscnt 0x0
	s_barrier_signal -1
	s_barrier_wait -1
	global_inv scope:SCOPE_SE
	ds_load_b128 v[24:27], v128
	ds_load_b128 v[36:39], v128 offset:6480
	ds_load_b128 v[40:43], v128 offset:12960
	s_and_saveexec_b32 s0, vcc_lo
	s_cbranch_execz .LBB0_31
; %bb.30:
	ds_load_b128 v[20:23], v128 offset:3888
	ds_load_b128 v[28:31], v128 offset:10368
	;; [unrolled: 1-line block ×3, first 2 shown]
.LBB0_31:
	s_wait_alu 0xfffe
	s_or_b32 exec_lo, exec_lo, s0
	s_wait_dscnt 0x1
	v_mul_f64_e32 v[44:45], v[66:67], v[38:39]
	s_wait_dscnt 0x0
	v_mul_f64_e32 v[46:47], v[62:63], v[42:43]
	v_mul_f64_e32 v[48:49], v[66:67], v[36:37]
	;; [unrolled: 1-line block ×7, first 2 shown]
	s_mov_b32 s0, 0xe8584caa
	s_mov_b32 s1, 0xbfebb67a
	s_wait_alu 0xfffe
	s_mov_b32 s8, s0
	global_wb scope:SCOPE_SE
	s_barrier_signal -1
	s_barrier_wait -1
	global_inv scope:SCOPE_SE
	v_fma_f64 v[36:37], v[64:65], v[36:37], v[44:45]
	v_fma_f64 v[40:41], v[60:61], v[40:41], v[46:47]
	v_fma_f64 v[38:39], v[64:65], v[38:39], -v[48:49]
	v_fma_f64 v[42:43], v[60:61], v[42:43], -v[50:51]
	v_fma_f64 v[28:29], v[56:57], v[28:29], v[62:63]
	v_fma_f64 v[32:33], v[52:53], v[32:33], v[66:67]
	v_fma_f64 v[30:31], v[56:57], v[30:31], -v[58:59]
	v_fma_f64 v[34:35], v[52:53], v[34:35], -v[54:55]
	v_add_f64_e32 v[52:53], v[24:25], v[36:37]
	v_add_f64_e32 v[44:45], v[36:37], v[40:41]
	v_add_f64_e64 v[60:61], v[36:37], -v[40:41]
	v_add_f64_e32 v[46:47], v[38:39], v[42:43]
	v_add_f64_e64 v[54:55], v[38:39], -v[42:43]
	v_add_f64_e32 v[48:49], v[28:29], v[32:33]
	v_add_f64_e32 v[38:39], v[26:27], v[38:39]
	;; [unrolled: 1-line block ×5, first 2 shown]
	v_add_f64_e64 v[30:31], v[30:31], -v[34:35]
	v_add_f64_e64 v[62:63], v[28:29], -v[32:33]
	v_fma_f64 v[44:45], v[44:45], -0.5, v[24:25]
	v_add_f64_e32 v[24:25], v[52:53], v[40:41]
	v_fma_f64 v[46:47], v[46:47], -0.5, v[26:27]
	v_fma_f64 v[48:49], v[48:49], -0.5, v[20:21]
	v_add_f64_e32 v[26:27], v[38:39], v[42:43]
	v_fma_f64 v[50:51], v[50:51], -0.5, v[22:23]
	v_add_f64_e32 v[20:21], v[56:57], v[32:33]
	v_add_f64_e32 v[22:23], v[58:59], v[34:35]
	v_fma_f64 v[36:37], v[54:55], s[0:1], v[44:45]
	s_wait_alu 0xfffe
	v_fma_f64 v[40:41], v[54:55], s[8:9], v[44:45]
	v_fma_f64 v[38:39], v[60:61], s[8:9], v[46:47]
	;; [unrolled: 1-line block ×7, first 2 shown]
	ds_store_b128 v136, v[24:27]
	ds_store_b128 v136, v[36:39] offset:720
	ds_store_b128 v136, v[40:43] offset:1440
	s_and_saveexec_b32 s0, vcc_lo
	s_cbranch_execz .LBB0_33
; %bb.32:
	v_and_b32_e32 v24, 0xffff, v135
	s_delay_alu instid0(VALU_DEP_1)
	v_lshlrev_b32_e32 v24, 4, v24
	ds_store_b128 v24, v[20:23]
	ds_store_b128 v24, v[28:31] offset:720
	ds_store_b128 v24, v[32:35] offset:1440
.LBB0_33:
	s_wait_alu 0xfffe
	s_or_b32 exec_lo, exec_lo, s0
	global_wb scope:SCOPE_SE
	s_wait_dscnt 0x0
	s_barrier_signal -1
	s_barrier_wait -1
	global_inv scope:SCOPE_SE
	ds_load_b128 v[24:27], v128
	ds_load_b128 v[36:39], v128 offset:6480
	ds_load_b128 v[40:43], v128 offset:12960
	s_and_saveexec_b32 s0, vcc_lo
	s_cbranch_execz .LBB0_35
; %bb.34:
	ds_load_b128 v[20:23], v128 offset:3888
	ds_load_b128 v[28:31], v128 offset:10368
	;; [unrolled: 1-line block ×3, first 2 shown]
.LBB0_35:
	s_wait_alu 0xfffe
	s_or_b32 exec_lo, exec_lo, s0
	s_wait_dscnt 0x1
	v_mul_f64_e32 v[44:45], v[74:75], v[38:39]
	s_wait_dscnt 0x0
	v_mul_f64_e32 v[46:47], v[70:71], v[42:43]
	v_mul_f64_e32 v[48:49], v[74:75], v[36:37]
	v_mul_f64_e32 v[50:51], v[70:71], v[40:41]
	v_mul_f64_e32 v[52:53], v[82:83], v[30:31]
	v_mul_f64_e32 v[54:55], v[78:79], v[34:35]
	v_mul_f64_e32 v[56:57], v[82:83], v[28:29]
	v_mul_f64_e32 v[58:59], v[78:79], v[32:33]
	s_mov_b32 s0, 0xe8584caa
	s_mov_b32 s1, 0xbfebb67a
	s_wait_alu 0xfffe
	s_mov_b32 s8, s0
	global_wb scope:SCOPE_SE
	s_barrier_signal -1
	s_barrier_wait -1
	global_inv scope:SCOPE_SE
	v_fma_f64 v[36:37], v[72:73], v[36:37], v[44:45]
	v_fma_f64 v[40:41], v[68:69], v[40:41], v[46:47]
	v_fma_f64 v[38:39], v[72:73], v[38:39], -v[48:49]
	v_fma_f64 v[42:43], v[68:69], v[42:43], -v[50:51]
	v_fma_f64 v[28:29], v[80:81], v[28:29], v[52:53]
	v_fma_f64 v[44:45], v[76:77], v[32:33], v[54:55]
	v_fma_f64 v[30:31], v[80:81], v[30:31], -v[56:57]
	v_fma_f64 v[46:47], v[76:77], v[34:35], -v[58:59]
	v_add_f64_e32 v[52:53], v[24:25], v[36:37]
	v_add_f64_e32 v[32:33], v[36:37], v[40:41]
	v_add_f64_e64 v[60:61], v[36:37], -v[40:41]
	v_add_f64_e32 v[34:35], v[38:39], v[42:43]
	v_add_f64_e64 v[54:55], v[38:39], -v[42:43]
	v_add_f64_e32 v[48:49], v[28:29], v[44:45]
	v_add_f64_e32 v[38:39], v[26:27], v[38:39]
	;; [unrolled: 1-line block ×5, first 2 shown]
	v_add_f64_e64 v[30:31], v[30:31], -v[46:47]
	v_add_f64_e64 v[62:63], v[28:29], -v[44:45]
	v_fma_f64 v[24:25], v[32:33], -0.5, v[24:25]
	v_add_f64_e32 v[32:33], v[52:53], v[40:41]
	v_fma_f64 v[26:27], v[34:35], -0.5, v[26:27]
	v_fma_f64 v[48:49], v[48:49], -0.5, v[20:21]
	v_add_f64_e32 v[34:35], v[38:39], v[42:43]
	v_fma_f64 v[50:51], v[50:51], -0.5, v[22:23]
	v_add_f64_e32 v[20:21], v[56:57], v[44:45]
	v_add_f64_e32 v[22:23], v[58:59], v[46:47]
	v_fma_f64 v[36:37], v[54:55], s[0:1], v[24:25]
	s_wait_alu 0xfffe
	v_fma_f64 v[40:41], v[54:55], s[8:9], v[24:25]
	v_fma_f64 v[38:39], v[60:61], s[8:9], v[26:27]
	;; [unrolled: 1-line block ×7, first 2 shown]
	ds_store_b128 v137, v[32:35]
	ds_store_b128 v137, v[36:39] offset:2160
	ds_store_b128 v137, v[40:43] offset:4320
	s_and_saveexec_b32 s0, vcc_lo
	s_cbranch_execz .LBB0_37
; %bb.36:
	v_and_b32_e32 v32, 0xffff, v138
	s_delay_alu instid0(VALU_DEP_1)
	v_lshlrev_b32_e32 v32, 4, v32
	ds_store_b128 v32, v[20:23]
	ds_store_b128 v32, v[24:27] offset:2160
	ds_store_b128 v32, v[28:31] offset:4320
.LBB0_37:
	s_wait_alu 0xfffe
	s_or_b32 exec_lo, exec_lo, s0
	global_wb scope:SCOPE_SE
	s_wait_dscnt 0x0
	s_barrier_signal -1
	s_barrier_wait -1
	global_inv scope:SCOPE_SE
	ds_load_b128 v[32:35], v128
	ds_load_b128 v[36:39], v128 offset:6480
	ds_load_b128 v[40:43], v128 offset:12960
	s_and_saveexec_b32 s0, vcc_lo
	s_cbranch_execz .LBB0_39
; %bb.38:
	ds_load_b128 v[20:23], v128 offset:3888
	ds_load_b128 v[24:27], v128 offset:10368
	;; [unrolled: 1-line block ×3, first 2 shown]
.LBB0_39:
	s_wait_alu 0xfffe
	s_or_b32 exec_lo, exec_lo, s0
	s_wait_dscnt 0x1
	v_mul_f64_e32 v[44:45], v[98:99], v[38:39]
	s_wait_dscnt 0x0
	v_mul_f64_e32 v[46:47], v[94:95], v[42:43]
	v_mul_f64_e32 v[48:49], v[98:99], v[36:37]
	;; [unrolled: 1-line block ×3, first 2 shown]
	s_mov_b32 s0, 0xe8584caa
	s_mov_b32 s1, 0xbfebb67a
	s_wait_alu 0xfffe
	s_mov_b32 s8, s0
	s_delay_alu instid0(VALU_DEP_4) | instskip(NEXT) | instid1(VALU_DEP_4)
	v_fma_f64 v[36:37], v[96:97], v[36:37], v[44:45]
	v_fma_f64 v[40:41], v[92:93], v[40:41], v[46:47]
	s_delay_alu instid0(VALU_DEP_4) | instskip(NEXT) | instid1(VALU_DEP_4)
	v_fma_f64 v[38:39], v[96:97], v[38:39], -v[48:49]
	v_fma_f64 v[42:43], v[92:93], v[42:43], -v[50:51]
	s_delay_alu instid0(VALU_DEP_4) | instskip(NEXT) | instid1(VALU_DEP_4)
	v_add_f64_e32 v[48:49], v[32:33], v[36:37]
	v_add_f64_e32 v[44:45], v[36:37], v[40:41]
	v_add_f64_e64 v[52:53], v[36:37], -v[40:41]
	s_delay_alu instid0(VALU_DEP_4)
	v_add_f64_e32 v[46:47], v[38:39], v[42:43]
	v_add_f64_e64 v[50:51], v[38:39], -v[42:43]
	v_add_f64_e32 v[38:39], v[34:35], v[38:39]
	v_fma_f64 v[44:45], v[44:45], -0.5, v[32:33]
	v_add_f64_e32 v[32:33], v[48:49], v[40:41]
	v_fma_f64 v[46:47], v[46:47], -0.5, v[34:35]
	s_delay_alu instid0(VALU_DEP_4) | instskip(NEXT) | instid1(VALU_DEP_4)
	v_add_f64_e32 v[34:35], v[38:39], v[42:43]
	v_fma_f64 v[36:37], v[50:51], s[0:1], v[44:45]
	s_wait_alu 0xfffe
	v_fma_f64 v[40:41], v[50:51], s[8:9], v[44:45]
	s_delay_alu instid0(VALU_DEP_4)
	v_fma_f64 v[38:39], v[52:53], s[8:9], v[46:47]
	v_fma_f64 v[42:43], v[52:53], s[0:1], v[46:47]
	ds_store_b128 v128, v[32:35]
	ds_store_b128 v128, v[36:39] offset:6480
	ds_store_b128 v128, v[40:43] offset:12960
	s_and_saveexec_b32 s10, vcc_lo
	s_cbranch_execz .LBB0_41
; %bb.40:
	v_mul_f64_e32 v[32:33], v[90:91], v[24:25]
	v_mul_f64_e32 v[34:35], v[86:87], v[28:29]
	;; [unrolled: 1-line block ×4, first 2 shown]
	s_delay_alu instid0(VALU_DEP_4) | instskip(NEXT) | instid1(VALU_DEP_4)
	v_fma_f64 v[26:27], v[88:89], v[26:27], -v[32:33]
	v_fma_f64 v[30:31], v[84:85], v[30:31], -v[34:35]
	s_delay_alu instid0(VALU_DEP_4) | instskip(NEXT) | instid1(VALU_DEP_4)
	v_fma_f64 v[24:25], v[88:89], v[24:25], v[36:37]
	v_fma_f64 v[28:29], v[84:85], v[28:29], v[38:39]
	s_delay_alu instid0(VALU_DEP_4) | instskip(NEXT) | instid1(VALU_DEP_4)
	v_add_f64_e32 v[38:39], v[22:23], v[26:27]
	v_add_f64_e32 v[32:33], v[26:27], v[30:31]
	v_add_f64_e64 v[40:41], v[26:27], -v[30:31]
	s_delay_alu instid0(VALU_DEP_4)
	v_add_f64_e32 v[34:35], v[24:25], v[28:29]
	v_add_f64_e64 v[36:37], v[24:25], -v[28:29]
	v_add_f64_e32 v[24:25], v[20:21], v[24:25]
	v_fma_f64 v[32:33], v[32:33], -0.5, v[22:23]
	v_add_f64_e32 v[22:23], v[38:39], v[30:31]
	v_fma_f64 v[34:35], v[34:35], -0.5, v[20:21]
	s_delay_alu instid0(VALU_DEP_4) | instskip(NEXT) | instid1(VALU_DEP_4)
	v_add_f64_e32 v[20:21], v[24:25], v[28:29]
	v_fma_f64 v[30:31], v[36:37], s[8:9], v[32:33]
	v_fma_f64 v[26:27], v[36:37], s[0:1], v[32:33]
	s_delay_alu instid0(VALU_DEP_4)
	v_fma_f64 v[28:29], v[40:41], s[0:1], v[34:35]
	v_fma_f64 v[24:25], v[40:41], s[8:9], v[34:35]
	ds_store_b128 v128, v[20:23] offset:3888
	ds_store_b128 v128, v[28:31] offset:10368
	;; [unrolled: 1-line block ×3, first 2 shown]
.LBB0_41:
	s_wait_alu 0xfffe
	s_or_b32 exec_lo, exec_lo, s10
	global_wb scope:SCOPE_SE
	s_wait_dscnt 0x0
	s_barrier_signal -1
	s_barrier_wait -1
	global_inv scope:SCOPE_SE
	ds_load_b128 v[20:23], v128
	ds_load_b128 v[24:27], v128 offset:3888
	ds_load_b128 v[28:31], v128 offset:7776
	;; [unrolled: 1-line block ×4, first 2 shown]
	s_mov_b32 s0, 0x40e53dbc
	s_mov_b32 s1, 0x3f4af834
	s_wait_dscnt 0x4
	v_mul_f64_e32 v[40:41], v[2:3], v[22:23]
	v_mul_f64_e32 v[2:3], v[2:3], v[20:21]
	s_wait_dscnt 0x3
	v_mul_f64_e32 v[42:43], v[6:7], v[26:27]
	v_mul_f64_e32 v[6:7], v[6:7], v[24:25]
	;; [unrolled: 3-line block ×5, first 2 shown]
	v_fma_f64 v[20:21], v[0:1], v[20:21], v[40:41]
	v_fma_f64 v[2:3], v[0:1], v[22:23], -v[2:3]
	v_fma_f64 v[22:23], v[4:5], v[24:25], v[42:43]
	v_fma_f64 v[6:7], v[4:5], v[26:27], -v[6:7]
	;; [unrolled: 2-line block ×5, first 2 shown]
	v_mad_co_u64_u32 v[30:31], null, s6, v124, 0
	v_mad_co_u64_u32 v[32:33], null, s4, v127, 0
	s_delay_alu instid0(VALU_DEP_1) | instskip(NEXT) | instid1(VALU_DEP_1)
	v_dual_mov_b32 v0, v31 :: v_dual_mov_b32 v1, v33
	v_mad_co_u64_u32 v[4:5], null, s7, v124, v[0:1]
	s_delay_alu instid0(VALU_DEP_1)
	v_mov_b32_e32 v31, v4
	v_mad_co_u64_u32 v[0:1], null, s5, v127, v[1:2]
	s_wait_alu 0xfffe
	v_mul_f64_e32 v[2:3], s[0:1], v[2:3]
	v_mul_f64_e32 v[4:5], s[0:1], v[22:23]
	;; [unrolled: 1-line block ×6, first 2 shown]
	v_mov_b32_e32 v33, v0
	v_mul_f64_e32 v[0:1], s[0:1], v[20:21]
	v_mul_f64_e32 v[14:15], s[0:1], v[26:27]
	;; [unrolled: 1-line block ×4, first 2 shown]
	v_lshlrev_b64_e32 v[20:21], 4, v[30:31]
	v_lshlrev_b64_e32 v[22:23], 4, v[32:33]
	s_mul_u64 s[0:1], s[4:5], 0xf30
	s_delay_alu instid0(VALU_DEP_2) | instskip(SKIP_1) | instid1(VALU_DEP_3)
	v_add_co_u32 v20, vcc_lo, s2, v20
	s_wait_alu 0xfffd
	v_add_co_ci_u32_e32 v21, vcc_lo, s3, v21, vcc_lo
	s_delay_alu instid0(VALU_DEP_2) | instskip(SKIP_1) | instid1(VALU_DEP_2)
	v_add_co_u32 v20, vcc_lo, v20, v22
	s_wait_alu 0xfffd
	v_add_co_ci_u32_e32 v21, vcc_lo, v21, v23, vcc_lo
	s_wait_alu 0xfffe
	s_delay_alu instid0(VALU_DEP_2) | instskip(SKIP_1) | instid1(VALU_DEP_2)
	v_add_co_u32 v22, vcc_lo, v20, s0
	s_wait_alu 0xfffd
	v_add_co_ci_u32_e32 v23, vcc_lo, s1, v21, vcc_lo
	s_delay_alu instid0(VALU_DEP_2) | instskip(SKIP_1) | instid1(VALU_DEP_2)
	v_add_co_u32 v24, vcc_lo, v22, s0
	s_wait_alu 0xfffd
	v_add_co_ci_u32_e32 v25, vcc_lo, s1, v23, vcc_lo
	;; [unrolled: 4-line block ×4, first 2 shown]
	s_clause 0x4
	global_store_b128 v[20:21], v[0:3], off
	global_store_b128 v[22:23], v[4:7], off
	;; [unrolled: 1-line block ×5, first 2 shown]
.LBB0_42:
	s_nop 0
	s_sendmsg sendmsg(MSG_DEALLOC_VGPRS)
	s_endpgm
	.section	.rodata,"a",@progbits
	.p2align	6, 0x0
	.amdhsa_kernel bluestein_single_fwd_len1215_dim1_dp_op_CI_CI
		.amdhsa_group_segment_fixed_size 19440
		.amdhsa_private_segment_fixed_size 0
		.amdhsa_kernarg_size 104
		.amdhsa_user_sgpr_count 2
		.amdhsa_user_sgpr_dispatch_ptr 0
		.amdhsa_user_sgpr_queue_ptr 0
		.amdhsa_user_sgpr_kernarg_segment_ptr 1
		.amdhsa_user_sgpr_dispatch_id 0
		.amdhsa_user_sgpr_private_segment_size 0
		.amdhsa_wavefront_size32 1
		.amdhsa_uses_dynamic_stack 0
		.amdhsa_enable_private_segment 0
		.amdhsa_system_sgpr_workgroup_id_x 1
		.amdhsa_system_sgpr_workgroup_id_y 0
		.amdhsa_system_sgpr_workgroup_id_z 0
		.amdhsa_system_sgpr_workgroup_info 0
		.amdhsa_system_vgpr_workitem_id 0
		.amdhsa_next_free_vgpr 169
		.amdhsa_next_free_sgpr 20
		.amdhsa_reserve_vcc 1
		.amdhsa_float_round_mode_32 0
		.amdhsa_float_round_mode_16_64 0
		.amdhsa_float_denorm_mode_32 3
		.amdhsa_float_denorm_mode_16_64 3
		.amdhsa_fp16_overflow 0
		.amdhsa_workgroup_processor_mode 1
		.amdhsa_memory_ordered 1
		.amdhsa_forward_progress 0
		.amdhsa_round_robin_scheduling 0
		.amdhsa_exception_fp_ieee_invalid_op 0
		.amdhsa_exception_fp_denorm_src 0
		.amdhsa_exception_fp_ieee_div_zero 0
		.amdhsa_exception_fp_ieee_overflow 0
		.amdhsa_exception_fp_ieee_underflow 0
		.amdhsa_exception_fp_ieee_inexact 0
		.amdhsa_exception_int_div_zero 0
	.end_amdhsa_kernel
	.text
.Lfunc_end0:
	.size	bluestein_single_fwd_len1215_dim1_dp_op_CI_CI, .Lfunc_end0-bluestein_single_fwd_len1215_dim1_dp_op_CI_CI
                                        ; -- End function
	.section	.AMDGPU.csdata,"",@progbits
; Kernel info:
; codeLenInByte = 9148
; NumSgprs: 22
; NumVgprs: 169
; ScratchSize: 0
; MemoryBound: 0
; FloatMode: 240
; IeeeMode: 1
; LDSByteSize: 19440 bytes/workgroup (compile time only)
; SGPRBlocks: 2
; VGPRBlocks: 21
; NumSGPRsForWavesPerEU: 22
; NumVGPRsForWavesPerEU: 169
; Occupancy: 8
; WaveLimiterHint : 1
; COMPUTE_PGM_RSRC2:SCRATCH_EN: 0
; COMPUTE_PGM_RSRC2:USER_SGPR: 2
; COMPUTE_PGM_RSRC2:TRAP_HANDLER: 0
; COMPUTE_PGM_RSRC2:TGID_X_EN: 1
; COMPUTE_PGM_RSRC2:TGID_Y_EN: 0
; COMPUTE_PGM_RSRC2:TGID_Z_EN: 0
; COMPUTE_PGM_RSRC2:TIDIG_COMP_CNT: 0
	.text
	.p2alignl 7, 3214868480
	.fill 96, 4, 3214868480
	.type	__hip_cuid_36509a051790d61f,@object ; @__hip_cuid_36509a051790d61f
	.section	.bss,"aw",@nobits
	.globl	__hip_cuid_36509a051790d61f
__hip_cuid_36509a051790d61f:
	.byte	0                               ; 0x0
	.size	__hip_cuid_36509a051790d61f, 1

	.ident	"AMD clang version 19.0.0git (https://github.com/RadeonOpenCompute/llvm-project roc-6.4.0 25133 c7fe45cf4b819c5991fe208aaa96edf142730f1d)"
	.section	".note.GNU-stack","",@progbits
	.addrsig
	.addrsig_sym __hip_cuid_36509a051790d61f
	.amdgpu_metadata
---
amdhsa.kernels:
  - .args:
      - .actual_access:  read_only
        .address_space:  global
        .offset:         0
        .size:           8
        .value_kind:     global_buffer
      - .actual_access:  read_only
        .address_space:  global
        .offset:         8
        .size:           8
        .value_kind:     global_buffer
      - .actual_access:  read_only
        .address_space:  global
        .offset:         16
        .size:           8
        .value_kind:     global_buffer
      - .actual_access:  read_only
        .address_space:  global
        .offset:         24
        .size:           8
        .value_kind:     global_buffer
      - .actual_access:  read_only
        .address_space:  global
        .offset:         32
        .size:           8
        .value_kind:     global_buffer
      - .offset:         40
        .size:           8
        .value_kind:     by_value
      - .address_space:  global
        .offset:         48
        .size:           8
        .value_kind:     global_buffer
      - .address_space:  global
        .offset:         56
        .size:           8
        .value_kind:     global_buffer
      - .address_space:  global
        .offset:         64
        .size:           8
        .value_kind:     global_buffer
      - .address_space:  global
        .offset:         72
        .size:           8
        .value_kind:     global_buffer
      - .offset:         80
        .size:           4
        .value_kind:     by_value
      - .address_space:  global
        .offset:         88
        .size:           8
        .value_kind:     global_buffer
      - .address_space:  global
        .offset:         96
        .size:           8
        .value_kind:     global_buffer
    .group_segment_fixed_size: 19440
    .kernarg_segment_align: 8
    .kernarg_segment_size: 104
    .language:       OpenCL C
    .language_version:
      - 2
      - 0
    .max_flat_workgroup_size: 243
    .name:           bluestein_single_fwd_len1215_dim1_dp_op_CI_CI
    .private_segment_fixed_size: 0
    .sgpr_count:     22
    .sgpr_spill_count: 0
    .symbol:         bluestein_single_fwd_len1215_dim1_dp_op_CI_CI.kd
    .uniform_work_group_size: 1
    .uses_dynamic_stack: false
    .vgpr_count:     169
    .vgpr_spill_count: 0
    .wavefront_size: 32
    .workgroup_processor_mode: 1
amdhsa.target:   amdgcn-amd-amdhsa--gfx1201
amdhsa.version:
  - 1
  - 2
...

	.end_amdgpu_metadata
